;; amdgpu-corpus repo=ROCm/rocFFT kind=compiled arch=gfx906 opt=O3
	.text
	.amdgcn_target "amdgcn-amd-amdhsa--gfx906"
	.amdhsa_code_object_version 6
	.protected	fft_rtc_back_len1848_factors_3_11_7_4_2_wgs_231_tpt_231_halfLds_sp_op_CI_CI_unitstride_sbrr_C2R_dirReg ; -- Begin function fft_rtc_back_len1848_factors_3_11_7_4_2_wgs_231_tpt_231_halfLds_sp_op_CI_CI_unitstride_sbrr_C2R_dirReg
	.globl	fft_rtc_back_len1848_factors_3_11_7_4_2_wgs_231_tpt_231_halfLds_sp_op_CI_CI_unitstride_sbrr_C2R_dirReg
	.p2align	8
	.type	fft_rtc_back_len1848_factors_3_11_7_4_2_wgs_231_tpt_231_halfLds_sp_op_CI_CI_unitstride_sbrr_C2R_dirReg,@function
fft_rtc_back_len1848_factors_3_11_7_4_2_wgs_231_tpt_231_halfLds_sp_op_CI_CI_unitstride_sbrr_C2R_dirReg: ; @fft_rtc_back_len1848_factors_3_11_7_4_2_wgs_231_tpt_231_halfLds_sp_op_CI_CI_unitstride_sbrr_C2R_dirReg
; %bb.0:
	s_load_dwordx4 s[8:11], s[4:5], 0x58
	s_load_dwordx4 s[12:15], s[4:5], 0x0
	;; [unrolled: 1-line block ×3, first 2 shown]
	v_mul_u32_u24_e32 v1, 0x11c, v0
	v_add_u32_sdwa v5, s6, v1 dst_sel:DWORD dst_unused:UNUSED_PAD src0_sel:DWORD src1_sel:WORD_1
	v_mov_b32_e32 v3, 0
	s_waitcnt lgkmcnt(0)
	v_cmp_lt_u64_e64 s[0:1], s[14:15], 2
	v_mov_b32_e32 v1, 0
	v_mov_b32_e32 v6, v3
	s_and_b64 vcc, exec, s[0:1]
	v_mov_b32_e32 v2, 0
	s_cbranch_vccnz .LBB0_8
; %bb.1:
	s_load_dwordx2 s[0:1], s[4:5], 0x10
	s_add_u32 s2, s18, 8
	s_addc_u32 s3, s19, 0
	s_add_u32 s6, s16, 8
	v_mov_b32_e32 v1, 0
	s_addc_u32 s7, s17, 0
	v_mov_b32_e32 v2, 0
	s_waitcnt lgkmcnt(0)
	s_add_u32 s20, s0, 8
	v_mov_b32_e32 v21, v2
	s_addc_u32 s21, s1, 0
	s_mov_b64 s[22:23], 1
	v_mov_b32_e32 v20, v1
.LBB0_2:                                ; =>This Inner Loop Header: Depth=1
	s_load_dwordx2 s[24:25], s[20:21], 0x0
                                        ; implicit-def: $vgpr22_vgpr23
	s_waitcnt lgkmcnt(0)
	v_or_b32_e32 v4, s25, v6
	v_cmp_ne_u64_e32 vcc, 0, v[3:4]
	s_and_saveexec_b64 s[0:1], vcc
	s_xor_b64 s[26:27], exec, s[0:1]
	s_cbranch_execz .LBB0_4
; %bb.3:                                ;   in Loop: Header=BB0_2 Depth=1
	v_cvt_f32_u32_e32 v4, s24
	v_cvt_f32_u32_e32 v7, s25
	s_sub_u32 s0, 0, s24
	s_subb_u32 s1, 0, s25
	v_mac_f32_e32 v4, 0x4f800000, v7
	v_rcp_f32_e32 v4, v4
	v_mul_f32_e32 v4, 0x5f7ffffc, v4
	v_mul_f32_e32 v7, 0x2f800000, v4
	v_trunc_f32_e32 v7, v7
	v_mac_f32_e32 v4, 0xcf800000, v7
	v_cvt_u32_f32_e32 v7, v7
	v_cvt_u32_f32_e32 v4, v4
	v_mul_lo_u32 v8, s0, v7
	v_mul_hi_u32 v9, s0, v4
	v_mul_lo_u32 v11, s1, v4
	v_mul_lo_u32 v10, s0, v4
	v_add_u32_e32 v8, v9, v8
	v_add_u32_e32 v8, v8, v11
	v_mul_hi_u32 v9, v4, v10
	v_mul_lo_u32 v11, v4, v8
	v_mul_hi_u32 v13, v4, v8
	v_mul_hi_u32 v12, v7, v10
	v_mul_lo_u32 v10, v7, v10
	v_mul_hi_u32 v14, v7, v8
	v_add_co_u32_e32 v9, vcc, v9, v11
	v_addc_co_u32_e32 v11, vcc, 0, v13, vcc
	v_mul_lo_u32 v8, v7, v8
	v_add_co_u32_e32 v9, vcc, v9, v10
	v_addc_co_u32_e32 v9, vcc, v11, v12, vcc
	v_addc_co_u32_e32 v10, vcc, 0, v14, vcc
	v_add_co_u32_e32 v8, vcc, v9, v8
	v_addc_co_u32_e32 v9, vcc, 0, v10, vcc
	v_add_co_u32_e32 v4, vcc, v4, v8
	v_addc_co_u32_e32 v7, vcc, v7, v9, vcc
	v_mul_lo_u32 v8, s0, v7
	v_mul_hi_u32 v9, s0, v4
	v_mul_lo_u32 v10, s1, v4
	v_mul_lo_u32 v11, s0, v4
	v_add_u32_e32 v8, v9, v8
	v_add_u32_e32 v8, v8, v10
	v_mul_lo_u32 v12, v4, v8
	v_mul_hi_u32 v13, v4, v11
	v_mul_hi_u32 v14, v4, v8
	v_mul_hi_u32 v10, v7, v11
	v_mul_lo_u32 v11, v7, v11
	v_mul_hi_u32 v9, v7, v8
	v_add_co_u32_e32 v12, vcc, v13, v12
	v_addc_co_u32_e32 v13, vcc, 0, v14, vcc
	v_mul_lo_u32 v8, v7, v8
	v_add_co_u32_e32 v11, vcc, v12, v11
	v_addc_co_u32_e32 v10, vcc, v13, v10, vcc
	v_addc_co_u32_e32 v9, vcc, 0, v9, vcc
	v_add_co_u32_e32 v8, vcc, v10, v8
	v_addc_co_u32_e32 v9, vcc, 0, v9, vcc
	v_add_co_u32_e32 v4, vcc, v4, v8
	v_addc_co_u32_e32 v9, vcc, v7, v9, vcc
	v_mad_u64_u32 v[7:8], s[0:1], v5, v9, 0
	v_mul_hi_u32 v10, v5, v4
	v_add_co_u32_e32 v11, vcc, v10, v7
	v_addc_co_u32_e32 v12, vcc, 0, v8, vcc
	v_mad_u64_u32 v[7:8], s[0:1], v6, v4, 0
	v_mad_u64_u32 v[9:10], s[0:1], v6, v9, 0
	v_add_co_u32_e32 v4, vcc, v11, v7
	v_addc_co_u32_e32 v4, vcc, v12, v8, vcc
	v_addc_co_u32_e32 v7, vcc, 0, v10, vcc
	v_add_co_u32_e32 v4, vcc, v4, v9
	v_addc_co_u32_e32 v9, vcc, 0, v7, vcc
	v_mul_lo_u32 v10, s25, v4
	v_mul_lo_u32 v11, s24, v9
	v_mad_u64_u32 v[7:8], s[0:1], s24, v4, 0
	v_add3_u32 v8, v8, v11, v10
	v_sub_u32_e32 v10, v6, v8
	v_mov_b32_e32 v11, s25
	v_sub_co_u32_e32 v7, vcc, v5, v7
	v_subb_co_u32_e64 v10, s[0:1], v10, v11, vcc
	v_subrev_co_u32_e64 v11, s[0:1], s24, v7
	v_subbrev_co_u32_e64 v10, s[0:1], 0, v10, s[0:1]
	v_cmp_le_u32_e64 s[0:1], s25, v10
	v_cndmask_b32_e64 v12, 0, -1, s[0:1]
	v_cmp_le_u32_e64 s[0:1], s24, v11
	v_cndmask_b32_e64 v11, 0, -1, s[0:1]
	v_cmp_eq_u32_e64 s[0:1], s25, v10
	v_cndmask_b32_e64 v10, v12, v11, s[0:1]
	v_add_co_u32_e64 v11, s[0:1], 2, v4
	v_addc_co_u32_e64 v12, s[0:1], 0, v9, s[0:1]
	v_add_co_u32_e64 v13, s[0:1], 1, v4
	v_addc_co_u32_e64 v14, s[0:1], 0, v9, s[0:1]
	v_subb_co_u32_e32 v8, vcc, v6, v8, vcc
	v_cmp_ne_u32_e64 s[0:1], 0, v10
	v_cmp_le_u32_e32 vcc, s25, v8
	v_cndmask_b32_e64 v10, v14, v12, s[0:1]
	v_cndmask_b32_e64 v12, 0, -1, vcc
	v_cmp_le_u32_e32 vcc, s24, v7
	v_cndmask_b32_e64 v7, 0, -1, vcc
	v_cmp_eq_u32_e32 vcc, s25, v8
	v_cndmask_b32_e32 v7, v12, v7, vcc
	v_cmp_ne_u32_e32 vcc, 0, v7
	v_cndmask_b32_e64 v7, v13, v11, s[0:1]
	v_cndmask_b32_e32 v23, v9, v10, vcc
	v_cndmask_b32_e32 v22, v4, v7, vcc
.LBB0_4:                                ;   in Loop: Header=BB0_2 Depth=1
	s_andn2_saveexec_b64 s[0:1], s[26:27]
	s_cbranch_execz .LBB0_6
; %bb.5:                                ;   in Loop: Header=BB0_2 Depth=1
	v_cvt_f32_u32_e32 v4, s24
	s_sub_i32 s26, 0, s24
	v_mov_b32_e32 v23, v3
	v_rcp_iflag_f32_e32 v4, v4
	v_mul_f32_e32 v4, 0x4f7ffffe, v4
	v_cvt_u32_f32_e32 v4, v4
	v_mul_lo_u32 v7, s26, v4
	v_mul_hi_u32 v7, v4, v7
	v_add_u32_e32 v4, v4, v7
	v_mul_hi_u32 v4, v5, v4
	v_mul_lo_u32 v7, v4, s24
	v_add_u32_e32 v8, 1, v4
	v_sub_u32_e32 v7, v5, v7
	v_subrev_u32_e32 v9, s24, v7
	v_cmp_le_u32_e32 vcc, s24, v7
	v_cndmask_b32_e32 v7, v7, v9, vcc
	v_cndmask_b32_e32 v4, v4, v8, vcc
	v_add_u32_e32 v8, 1, v4
	v_cmp_le_u32_e32 vcc, s24, v7
	v_cndmask_b32_e32 v22, v4, v8, vcc
.LBB0_6:                                ;   in Loop: Header=BB0_2 Depth=1
	s_or_b64 exec, exec, s[0:1]
	v_mul_lo_u32 v4, v23, s24
	v_mul_lo_u32 v9, v22, s25
	v_mad_u64_u32 v[7:8], s[0:1], v22, s24, 0
	s_load_dwordx2 s[0:1], s[6:7], 0x0
	s_load_dwordx2 s[24:25], s[2:3], 0x0
	v_add3_u32 v4, v8, v9, v4
	v_sub_co_u32_e32 v5, vcc, v5, v7
	v_subb_co_u32_e32 v4, vcc, v6, v4, vcc
	s_waitcnt lgkmcnt(0)
	v_mul_lo_u32 v6, s0, v4
	v_mul_lo_u32 v7, s1, v5
	v_mad_u64_u32 v[1:2], s[0:1], s0, v5, v[1:2]
	v_mul_lo_u32 v4, s24, v4
	v_mul_lo_u32 v8, s25, v5
	v_mad_u64_u32 v[20:21], s[0:1], s24, v5, v[20:21]
	s_add_u32 s22, s22, 1
	s_addc_u32 s23, s23, 0
	s_add_u32 s2, s2, 8
	v_add3_u32 v21, v8, v21, v4
	s_addc_u32 s3, s3, 0
	v_mov_b32_e32 v4, s14
	s_add_u32 s6, s6, 8
	v_mov_b32_e32 v5, s15
	s_addc_u32 s7, s7, 0
	v_cmp_ge_u64_e32 vcc, s[22:23], v[4:5]
	s_add_u32 s20, s20, 8
	v_add3_u32 v2, v7, v2, v6
	s_addc_u32 s21, s21, 0
	s_cbranch_vccnz .LBB0_9
; %bb.7:                                ;   in Loop: Header=BB0_2 Depth=1
	v_mov_b32_e32 v5, v22
	v_mov_b32_e32 v6, v23
	s_branch .LBB0_2
.LBB0_8:
	v_mov_b32_e32 v21, v2
	v_mov_b32_e32 v23, v6
	;; [unrolled: 1-line block ×4, first 2 shown]
.LBB0_9:
	s_load_dwordx2 s[4:5], s[4:5], 0x28
	s_lshl_b64 s[6:7], s[14:15], 3
	s_add_u32 s2, s18, s6
	s_addc_u32 s3, s19, s7
                                        ; implicit-def: $vgpr24
                                        ; implicit-def: $vgpr3_vgpr4
	s_waitcnt lgkmcnt(0)
	v_cmp_gt_u64_e64 s[0:1], s[4:5], v[22:23]
	v_cmp_le_u64_e32 vcc, s[4:5], v[22:23]
	s_and_saveexec_b64 s[4:5], vcc
	s_xor_b64 s[4:5], exec, s[4:5]
; %bb.10:
	s_mov_b32 s14, 0x11bb4a5
	v_mul_hi_u32 v1, v0, s14
	v_mov_b32_e32 v25, 0
	v_mul_u32_u24_e32 v1, 0xe7, v1
	v_sub_u32_e32 v24, v0, v1
	v_mov_b32_e32 v3, v24
	v_mov_b32_e32 v4, v25
                                        ; implicit-def: $vgpr0
                                        ; implicit-def: $vgpr1_vgpr2
; %bb.11:
	s_or_saveexec_b64 s[4:5], s[4:5]
	s_load_dwordx2 s[2:3], s[2:3], 0x0
	s_xor_b64 exec, exec, s[4:5]
	s_cbranch_execz .LBB0_15
; %bb.12:
	s_add_u32 s6, s16, s6
	s_addc_u32 s7, s17, s7
	s_load_dwordx2 s[6:7], s[6:7], 0x0
	s_mov_b32 s14, 0x11bb4a5
	v_mul_hi_u32 v5, v0, s14
	v_lshlrev_b64 v[1:2], 3, v[1:2]
	v_mov_b32_e32 v25, 0
	s_waitcnt lgkmcnt(0)
	v_mul_lo_u32 v6, s7, v22
	v_mul_lo_u32 v7, s6, v23
	v_mad_u64_u32 v[3:4], s[6:7], s6, v22, 0
	v_mul_u32_u24_e32 v5, 0xe7, v5
	v_sub_u32_e32 v24, v0, v5
	v_add3_u32 v4, v4, v7, v6
	v_lshlrev_b64 v[3:4], 3, v[3:4]
	v_mov_b32_e32 v0, s9
	v_add_co_u32_e32 v3, vcc, s8, v3
	v_addc_co_u32_e32 v0, vcc, v0, v4, vcc
	v_add_co_u32_e32 v1, vcc, v3, v1
	v_addc_co_u32_e32 v0, vcc, v0, v2, vcc
	v_lshlrev_b32_e32 v30, 3, v24
	v_add_co_u32_e32 v2, vcc, v1, v30
	v_addc_co_u32_e32 v3, vcc, 0, v0, vcc
	s_movk_i32 s6, 0x1000
	v_add_co_u32_e32 v4, vcc, s6, v2
	v_addc_co_u32_e32 v5, vcc, 0, v3, vcc
	s_movk_i32 s6, 0x2000
	v_add_co_u32_e32 v14, vcc, s6, v2
	v_addc_co_u32_e32 v15, vcc, 0, v3, vcc
	global_load_dwordx2 v[6:7], v[4:5], off offset:1448
	global_load_dwordx2 v[8:9], v[2:3], off
	global_load_dwordx2 v[10:11], v[2:3], off offset:3696
	global_load_dwordx2 v[12:13], v[2:3], off offset:1848
	v_add_co_u32_e32 v2, vcc, 0x3000, v2
	v_addc_co_u32_e32 v3, vcc, 0, v3, vcc
	global_load_dwordx2 v[16:17], v[4:5], off offset:3296
	global_load_dwordx2 v[18:19], v[14:15], off offset:1048
	;; [unrolled: 1-line block ×4, first 2 shown]
	v_add_u32_e32 v2, 0, v30
	v_add_u32_e32 v3, 0xe00, v2
	;; [unrolled: 1-line block ×3, first 2 shown]
	s_movk_i32 s6, 0xe6
	v_add_u32_e32 v5, 0x2b00, v2
	v_cmp_eq_u32_e32 vcc, s6, v24
	s_waitcnt vmcnt(5)
	ds_write2_b64 v3, v[10:11], v[6:7] offset0:14 offset1:245
	s_waitcnt vmcnt(4)
	ds_write2_b64 v2, v[8:9], v[12:13] offset1:231
	s_waitcnt vmcnt(2)
	ds_write2_b64 v4, v[16:17], v[18:19] offset0:12 offset1:243
	s_waitcnt vmcnt(0)
	ds_write2_b64 v5, v[26:27], v[28:29] offset0:10 offset1:241
	v_mov_b32_e32 v3, v24
	v_mov_b32_e32 v4, v25
	s_and_saveexec_b64 s[6:7], vcc
	s_cbranch_execz .LBB0_14
; %bb.13:
	v_add_co_u32_e32 v1, vcc, 0x3000, v1
	v_addc_co_u32_e32 v2, vcc, 0, v0, vcc
	global_load_dwordx2 v[0:1], v[1:2], off offset:2496
	v_mov_b32_e32 v3, 0xe6
	v_mov_b32_e32 v4, 0
	;; [unrolled: 1-line block ×3, first 2 shown]
	s_waitcnt vmcnt(0)
	ds_write_b64 v25, v[0:1] offset:14784
.LBB0_14:
	s_or_b64 exec, exec, s[6:7]
.LBB0_15:
	s_or_b64 exec, exec, s[4:5]
	v_lshlrev_b32_e32 v0, 3, v24
	v_add_u32_e32 v38, 0, v0
	s_waitcnt lgkmcnt(0)
	s_barrier
	v_sub_u32_e32 v2, 0, v0
	ds_read_b32 v5, v38
	ds_read_b32 v6, v2 offset:14784
	s_add_u32 s6, s12, 0x39a8
	v_lshlrev_b64 v[26:27], 3, v[3:4]
	s_addc_u32 s7, s13, 0
	v_cmp_ne_u32_e32 vcc, 0, v24
	s_waitcnt lgkmcnt(0)
	v_add_f32_e32 v0, v6, v5
	v_sub_f32_e32 v1, v5, v6
	s_and_saveexec_b64 s[4:5], vcc
	s_xor_b64 s[4:5], exec, s[4:5]
	s_cbranch_execz .LBB0_17
; %bb.16:
	v_mov_b32_e32 v1, s7
	v_add_co_u32_e32 v0, vcc, s6, v26
	v_addc_co_u32_e32 v1, vcc, v1, v27, vcc
	global_load_dwordx2 v[3:4], v[0:1], off
	ds_read_b32 v0, v2 offset:14788
	ds_read_b32 v1, v38 offset:4
	v_add_f32_e32 v7, v6, v5
	v_sub_f32_e32 v8, v5, v6
	s_waitcnt lgkmcnt(0)
	v_add_f32_e32 v9, v0, v1
	v_sub_f32_e32 v0, v1, v0
	s_waitcnt vmcnt(0)
	v_fma_f32 v5, -v8, v4, v7
	v_fma_f32 v6, v9, v4, -v0
	v_fma_f32 v10, v8, v4, v7
	v_fma_f32 v1, v9, v4, v0
	v_fmac_f32_e32 v5, v3, v9
	v_fmac_f32_e32 v6, v8, v3
	v_fma_f32 v0, -v3, v9, v10
	v_fmac_f32_e32 v1, v8, v3
	ds_write_b64 v2, v[5:6] offset:14784
.LBB0_17:
	s_andn2_saveexec_b64 s[4:5], s[4:5]
	s_cbranch_execz .LBB0_19
; %bb.18:
	v_mov_b32_e32 v5, 0
	ds_read_b64 v[3:4], v5 offset:7392
	s_waitcnt lgkmcnt(0)
	v_add_f32_e32 v3, v3, v3
	v_mul_f32_e32 v4, -2.0, v4
	ds_write_b64 v5, v[3:4] offset:7392
.LBB0_19:
	s_or_b64 exec, exec, s[4:5]
	v_mov_b32_e32 v25, 0
	v_lshlrev_b64 v[28:29], 3, v[24:25]
	v_mov_b32_e32 v4, s7
	v_add_co_u32_e32 v3, vcc, s6, v28
	v_addc_co_u32_e32 v4, vcc, v4, v29, vcc
	global_load_dwordx2 v[5:6], v[3:4], off offset:1848
	global_load_dwordx2 v[7:8], v[3:4], off offset:3696
	s_movk_i32 s4, 0x1000
	v_add_co_u32_e32 v3, vcc, s4, v3
	v_addc_co_u32_e32 v4, vcc, 0, v4, vcc
	global_load_dwordx2 v[3:4], v[3:4], off offset:1448
	ds_write_b64 v38, v[0:1]
	ds_read_b64 v[0:1], v38 offset:1848
	ds_read_b64 v[9:10], v2 offset:12936
	s_movk_i32 s4, 0x9a
	v_cmp_gt_u32_e32 vcc, s4, v24
	s_waitcnt lgkmcnt(0)
	v_add_f32_e32 v11, v0, v9
	v_add_f32_e32 v12, v10, v1
	v_sub_f32_e32 v13, v0, v9
	v_sub_f32_e32 v0, v1, v10
	s_waitcnt vmcnt(2)
	v_fma_f32 v14, v13, v6, v11
	v_fma_f32 v1, v12, v6, v0
	v_fma_f32 v9, -v13, v6, v11
	v_fma_f32 v10, v12, v6, -v0
	v_fma_f32 v0, -v5, v12, v14
	v_fmac_f32_e32 v1, v13, v5
	v_fmac_f32_e32 v9, v5, v12
	;; [unrolled: 1-line block ×3, first 2 shown]
	ds_write_b64 v38, v[0:1] offset:1848
	ds_write_b64 v2, v[9:10] offset:12936
	ds_read_b64 v[0:1], v38 offset:3696
	ds_read_b64 v[5:6], v2 offset:11088
	s_waitcnt lgkmcnt(0)
	v_add_f32_e32 v9, v0, v5
	v_add_f32_e32 v10, v6, v1
	v_sub_f32_e32 v11, v0, v5
	v_sub_f32_e32 v0, v1, v6
	s_waitcnt vmcnt(1)
	v_fma_f32 v12, v11, v8, v9
	v_fma_f32 v1, v10, v8, v0
	v_fma_f32 v5, -v11, v8, v9
	v_fma_f32 v6, v10, v8, -v0
	v_fma_f32 v0, -v7, v10, v12
	v_fmac_f32_e32 v1, v11, v7
	v_fmac_f32_e32 v5, v7, v10
	;; [unrolled: 1-line block ×3, first 2 shown]
	ds_write_b64 v38, v[0:1] offset:3696
	ds_write_b64 v2, v[5:6] offset:11088
	ds_read_b64 v[0:1], v38 offset:5544
	ds_read_b64 v[5:6], v2 offset:9240
	v_add_u32_e32 v8, 0xc00, v38
	v_add_u32_e32 v12, 0x2600, v38
	s_waitcnt lgkmcnt(0)
	v_add_f32_e32 v7, v0, v5
	v_add_f32_e32 v9, v6, v1
	v_sub_f32_e32 v10, v0, v5
	v_sub_f32_e32 v0, v1, v6
	s_waitcnt vmcnt(0)
	v_fma_f32 v11, v10, v4, v7
	v_fma_f32 v1, v9, v4, v0
	v_fma_f32 v5, -v10, v4, v7
	v_fma_f32 v6, v9, v4, -v0
	v_fma_f32 v0, -v3, v9, v11
	v_fmac_f32_e32 v1, v10, v3
	v_fmac_f32_e32 v5, v3, v9
	;; [unrolled: 1-line block ×3, first 2 shown]
	ds_write_b64 v38, v[0:1] offset:5544
	ds_write_b64 v2, v[5:6] offset:9240
	s_waitcnt lgkmcnt(0)
	s_barrier
	s_barrier
	ds_read2_b64 v[4:7], v38 offset1:231
	ds_read2_b64 v[8:11], v8 offset0:78 offset1:232
	v_add_u32_e32 v0, 0x1a00, v38
	ds_read2_b64 v[0:3], v0 offset0:15 offset1:246
	ds_read2_b64 v[12:15], v12 offset0:16 offset1:247
	ds_read_b64 v[16:17], v38 offset:13552
	s_waitcnt lgkmcnt(0)
	s_barrier
	v_add_f32_e32 v19, v5, v11
	v_sub_f32_e32 v32, v11, v13
	v_add_f32_e32 v11, v11, v13
	v_add_f32_e32 v30, v7, v1
	v_sub_f32_e32 v34, v1, v15
	v_add_f32_e32 v35, v1, v15
	v_add_f32_e32 v1, v19, v13
	v_fma_f32 v13, -0.5, v11, v5
	v_add_f32_e32 v18, v4, v10
	v_add_f32_e32 v31, v10, v12
	v_sub_f32_e32 v10, v10, v12
	v_add_f32_e32 v33, v0, v14
	v_add_f32_e32 v39, v2, v16
	v_sub_f32_e32 v40, v3, v17
	v_add_f32_e32 v41, v9, v3
	v_add_f32_e32 v42, v3, v17
	v_mov_b32_e32 v3, v13
	v_add_f32_e32 v25, v6, v0
	v_sub_f32_e32 v36, v0, v14
	v_add_f32_e32 v37, v8, v2
	v_add_f32_e32 v0, v18, v12
	v_fma_f32 v12, -0.5, v31, v4
	v_fma_f32 v6, -0.5, v33, v6
	v_fmac_f32_e32 v13, 0xbf5db3d7, v10
	v_fmac_f32_e32 v3, 0x3f5db3d7, v10
	v_fmac_f32_e32 v7, -0.5, v35
	v_fma_f32 v8, -0.5, v39, v8
	v_fmac_f32_e32 v9, -0.5, v42
	v_lshlrev_b32_e32 v10, 4, v24
	v_sub_f32_e32 v43, v2, v16
	v_mov_b32_e32 v2, v12
	v_mov_b32_e32 v4, v6
	;; [unrolled: 1-line block ×5, first 2 shown]
	v_add_u32_e32 v10, v38, v10
	v_add_f32_e32 v14, v25, v14
	v_add_f32_e32 v15, v30, v15
	;; [unrolled: 1-line block ×4, first 2 shown]
	v_fmac_f32_e32 v12, 0x3f5db3d7, v32
	v_fmac_f32_e32 v2, 0xbf5db3d7, v32
	;; [unrolled: 1-line block ×10, first 2 shown]
	v_add_u32_e32 v11, 0x15a8, v10
	ds_write2_b64 v11, v[14:15], v[4:5] offset1:1
	ds_write2_b64 v10, v[0:1], v[2:3] offset1:1
	ds_write_b64 v10, v[12:13] offset:16
	ds_write_b64 v10, v[6:7] offset:5560
	s_and_saveexec_b64 s[4:5], vcc
	s_cbranch_execz .LBB0_21
; %bb.20:
	v_add_u32_e32 v11, 0x2b50, v10
	ds_write2_b64 v11, v[16:17], v[18:19] offset1:1
	ds_write_b64 v10, v[8:9] offset:11104
.LBB0_21:
	s_or_b64 exec, exec, s[4:5]
	s_movk_i32 s4, 0xa8
	v_cmp_gt_u32_e32 vcc, s4, v24
	s_waitcnt lgkmcnt(0)
	s_barrier
	s_waitcnt lgkmcnt(0)
                                        ; implicit-def: $vgpr31
	s_and_saveexec_b64 s[4:5], vcc
	s_cbranch_execz .LBB0_23
; %bb.22:
	v_add_u32_e32 v4, 0x800, v38
	v_add_u32_e32 v8, 0x1e00, v38
	ds_read2_b64 v[12:15], v4 offset0:80 offset1:248
	v_add_u32_e32 v4, 0x1400, v38
	ds_read2_b64 v[16:19], v8 offset0:48 offset1:216
	v_add_u32_e32 v8, 0x2800, v38
	ds_read2_b64 v[0:3], v38 offset1:168
	ds_read2_b64 v[4:7], v4 offset0:32 offset1:200
	ds_read2_b64 v[8:11], v8 offset0:64 offset1:232
	ds_read_b64 v[30:31], v38 offset:13440
.LBB0_23:
	s_or_b64 exec, exec, s[4:5]
	s_movk_i32 s4, 0xab
	v_mul_lo_u16_sdwa v25, v24, s4 dst_sel:DWORD dst_unused:UNUSED_PAD src0_sel:BYTE_0 src1_sel:DWORD
	v_lshrrev_b16_e32 v25, 9, v25
	v_mul_lo_u16_e32 v32, 3, v25
	v_sub_u16_e32 v32, v24, v32
	v_mov_b32_e32 v33, 10
	v_mul_u32_u24_sdwa v33, v32, v33 dst_sel:DWORD dst_unused:UNUSED_PAD src0_sel:BYTE_0 src1_sel:DWORD
	v_lshlrev_b32_e32 v33, 3, v33
	global_load_dwordx4 v[44:47], v33, s[12:13] offset:16
	global_load_dwordx4 v[48:51], v33, s[12:13]
	global_load_dwordx4 v[52:55], v33, s[12:13] offset:32
	global_load_dwordx4 v[56:59], v33, s[12:13] offset:48
	;; [unrolled: 1-line block ×3, first 2 shown]
	s_mov_b32 s7, 0x3f575c64
	s_mov_b32 s6, 0x3ed4b147
	;; [unrolled: 1-line block ×5, first 2 shown]
	s_waitcnt vmcnt(0) lgkmcnt(0)
	s_barrier
	v_mul_f32_e32 v33, v15, v45
	v_mul_f32_e32 v45, v14, v45
	;; [unrolled: 1-line block ×10, first 2 shown]
	v_fmac_f32_e32 v33, v14, v44
	v_fma_f32 v14, v15, v44, -v45
	v_fma_f32 v44, v3, v48, -v49
	v_fmac_f32_e32 v42, v10, v60
	v_fma_f32 v10, v11, v60, -v61
	v_fma_f32 v11, v31, v62, -v63
	v_mul_f32_e32 v36, v7, v53
	v_mul_f32_e32 v53, v6, v53
	v_mul_f32_e32 v40, v19, v57
	v_mul_f32_e32 v41, v9, v59
	v_mul_f32_e32 v59, v8, v59
	v_fmac_f32_e32 v35, v12, v50
	v_fma_f32 v12, v13, v50, -v51
	v_fmac_f32_e32 v39, v2, v48
	v_fmac_f32_e32 v43, v30, v62
	v_sub_f32_e32 v69, v44, v11
	v_add_f32_e32 v62, v44, v11
	v_mul_f32_e32 v34, v5, v47
	v_mul_f32_e32 v47, v4, v47
	;; [unrolled: 1-line block ×5, first 2 shown]
	v_fma_f32 v13, v7, v52, -v53
	v_fmac_f32_e32 v40, v18, v56
	v_fma_f32 v18, v9, v58, -v59
	v_add_f32_e32 v53, v39, v43
	v_sub_f32_e32 v68, v12, v10
	v_add_f32_e32 v60, v12, v10
	v_mul_f32_e32 v30, 0xbf0a6770, v69
	v_mul_f32_e32 v48, 0x3f575c64, v62
	v_fmac_f32_e32 v34, v4, v46
	v_fma_f32 v15, v5, v46, -v47
	v_fmac_f32_e32 v36, v6, v52
	v_fmac_f32_e32 v37, v16, v54
	v_fma_f32 v16, v17, v54, -v55
	v_fma_f32 v17, v19, v56, -v57
	v_add_f32_e32 v52, v35, v42
	v_sub_f32_e32 v78, v39, v43
	v_add_f32_e32 v59, v14, v18
	v_mul_f32_e32 v19, 0xbf68dda4, v68
	v_mul_f32_e32 v46, 0x3ed4b147, v60
	v_fma_f32 v2, v53, s7, -v30
	v_mov_b32_e32 v4, v48
	v_fmac_f32_e32 v41, v8, v58
	v_sub_f32_e32 v77, v35, v42
	v_sub_f32_e32 v72, v14, v18
	v_add_f32_e32 v73, v15, v17
	v_mul_f32_e32 v47, 0xbe11bafb, v59
	v_fma_f32 v3, v52, s6, -v19
	v_mov_b32_e32 v5, v46
	v_add_f32_e32 v2, v0, v2
	v_fmac_f32_e32 v4, 0xbf0a6770, v78
	v_add_f32_e32 v51, v33, v41
	v_sub_f32_e32 v58, v33, v41
	v_sub_f32_e32 v79, v15, v17
	v_mul_f32_e32 v31, 0xbf7d64f0, v72
	v_mov_b32_e32 v7, v47
	v_fmac_f32_e32 v5, 0xbf68dda4, v77
	v_add_f32_e32 v2, v3, v2
	v_add_f32_e32 v3, v1, v4
	v_mul_f32_e32 v49, 0xbf27a4f4, v73
	v_add_f32_e32 v55, v34, v40
	v_mul_f32_e32 v45, 0xbf4178ce, v79
	v_fma_f32 v6, v51, s8, -v31
	v_fmac_f32_e32 v7, 0xbf7d64f0, v58
	v_add_f32_e32 v3, v5, v3
	v_sub_f32_e32 v71, v34, v40
	v_mov_b32_e32 v4, v49
	v_sub_f32_e32 v91, v13, v16
	v_fma_f32 v8, v55, s9, -v45
	v_add_f32_e32 v2, v6, v2
	v_add_f32_e32 v3, v7, v3
	v_fmac_f32_e32 v4, 0xbf4178ce, v71
	v_add_f32_e32 v75, v36, v37
	v_mul_f32_e32 v50, 0xbe903f40, v91
	v_add_f32_e32 v89, v13, v16
	v_add_f32_e32 v2, v8, v2
	;; [unrolled: 1-line block ×3, first 2 shown]
	v_fma_f32 v4, v75, s14, -v50
	v_mul_f32_e32 v54, 0xbf75a155, v89
	v_add_f32_e32 v2, v4, v2
	v_sub_f32_e32 v76, v36, v37
	v_mov_b32_e32 v4, v54
	v_fmac_f32_e32 v4, 0xbe903f40, v76
	v_mul_f32_e32 v56, 0xbf68dda4, v69
	v_add_f32_e32 v3, v4, v3
	v_fma_f32 v4, v53, s6, -v56
	v_mul_f32_e32 v57, 0xbf4178ce, v68
	v_add_f32_e32 v4, v0, v4
	v_fma_f32 v5, v52, s9, -v57
	v_mul_f32_e32 v64, 0x3ed4b147, v62
	v_add_f32_e32 v4, v5, v4
	v_mov_b32_e32 v5, v64
	v_mul_f32_e32 v65, 0xbf27a4f4, v60
	v_fmac_f32_e32 v5, 0xbf68dda4, v78
	v_mov_b32_e32 v6, v65
	v_add_f32_e32 v5, v1, v5
	v_fmac_f32_e32 v6, 0xbf4178ce, v77
	v_mul_f32_e32 v61, 0x3e903f40, v72
	v_add_f32_e32 v5, v6, v5
	v_fma_f32 v6, v51, s14, -v61
	v_mul_f32_e32 v67, 0xbf75a155, v59
	v_add_f32_e32 v4, v6, v4
	v_mov_b32_e32 v6, v67
	v_fmac_f32_e32 v6, 0x3e903f40, v58
	v_mul_f32_e32 v63, 0x3f7d64f0, v79
	v_add_f32_e32 v5, v6, v5
	v_fma_f32 v6, v55, s8, -v63
	v_mul_f32_e32 v70, 0xbe11bafb, v73
	v_add_f32_e32 v4, v6, v4
	v_mov_b32_e32 v6, v70
	;; [unrolled: 7-line block ×3, first 2 shown]
	v_fmac_f32_e32 v4, 0x3f0a6770, v76
	v_mul_f32_e32 v80, 0xbf7d64f0, v69
	v_add_f32_e32 v7, v4, v5
	v_fma_f32 v4, v53, s8, -v80
	v_mul_f32_e32 v81, 0x3e903f40, v68
	v_add_f32_e32 v4, v0, v4
	v_fma_f32 v5, v52, s14, -v81
	v_mul_f32_e32 v84, 0xbe11bafb, v62
	v_add_f32_e32 v4, v5, v4
	v_mov_b32_e32 v5, v84
	v_mul_f32_e32 v85, 0xbf75a155, v60
	v_fmac_f32_e32 v5, 0xbf7d64f0, v78
	v_mov_b32_e32 v8, v85
	v_add_f32_e32 v5, v1, v5
	v_fmac_f32_e32 v8, 0x3e903f40, v77
	v_mul_f32_e32 v82, 0x3f68dda4, v72
	v_add_f32_e32 v5, v8, v5
	v_fma_f32 v8, v51, s6, -v82
	v_mul_f32_e32 v87, 0x3ed4b147, v59
	v_add_f32_e32 v4, v8, v4
	v_mov_b32_e32 v8, v87
	v_fmac_f32_e32 v8, 0x3f68dda4, v58
	v_mul_f32_e32 v83, 0xbf0a6770, v79
	v_add_f32_e32 v5, v8, v5
	v_fma_f32 v8, v55, s7, -v83
	v_mul_f32_e32 v88, 0x3f575c64, v73
	v_add_f32_e32 v4, v8, v4
	v_mov_b32_e32 v8, v88
	;; [unrolled: 7-line block ×3, first 2 shown]
	v_fmac_f32_e32 v4, 0xbf4178ce, v76
	v_mul_f32_e32 v92, 0xbf4178ce, v69
	v_add_f32_e32 v9, v4, v5
	v_fma_f32 v4, v53, s9, -v92
	v_mul_f32_e32 v93, 0x3f7d64f0, v68
	v_add_f32_e32 v4, v0, v4
	v_fma_f32 v5, v52, s8, -v93
	v_mul_f32_e32 v97, 0xbf27a4f4, v62
	v_add_f32_e32 v4, v5, v4
	v_mov_b32_e32 v5, v97
	v_mul_f32_e32 v96, 0xbe11bafb, v60
	v_fmac_f32_e32 v5, 0xbf4178ce, v78
	v_mov_b32_e32 v94, v96
	v_add_f32_e32 v5, v1, v5
	v_fmac_f32_e32 v94, 0x3f7d64f0, v77
	v_add_f32_e32 v5, v94, v5
	v_mul_f32_e32 v94, 0xbf0a6770, v72
	v_fma_f32 v95, v51, s7, -v94
	v_mul_f32_e32 v99, 0x3f575c64, v59
	v_add_f32_e32 v4, v95, v4
	v_mov_b32_e32 v95, v99
	v_fmac_f32_e32 v95, 0xbf0a6770, v58
	v_add_f32_e32 v5, v95, v5
	v_mul_f32_e32 v95, 0xbe903f40, v79
	v_fma_f32 v98, v55, s14, -v95
	v_mul_f32_e32 v100, 0xbf75a155, v73
	v_add_f32_e32 v4, v98, v4
	v_mov_b32_e32 v98, v100
	v_fmac_f32_e32 v98, 0xbe903f40, v71
	v_add_f32_e32 v5, v98, v5
	v_mul_f32_e32 v98, 0x3f68dda4, v91
	v_fma_f32 v101, v75, s6, -v98
	v_add_f32_e32 v4, v101, v4
	v_mul_f32_e32 v101, 0x3ed4b147, v89
	v_mov_b32_e32 v102, v101
	v_fmac_f32_e32 v102, 0x3f68dda4, v76
	v_add_f32_e32 v5, v102, v5
	s_and_saveexec_b64 s[4:5], vcc
	s_cbranch_execz .LBB0_25
; %bb.24:
	v_mul_f32_e32 v118, 0xbe903f40, v78
	v_mul_f32_e32 v103, 0xbf0a6770, v78
	;; [unrolled: 1-line block ×5, first 2 shown]
	v_mov_b32_e32 v78, v118
	v_mul_f32_e32 v119, 0x3f0a6770, v77
	v_mul_f32_e32 v111, 0xbf68dda4, v77
	;; [unrolled: 1-line block ×5, first 2 shown]
	v_fmac_f32_e32 v78, 0xbf75a155, v62
	v_mov_b32_e32 v77, v119
	v_add_f32_e32 v78, v1, v78
	v_fmac_f32_e32 v77, 0x3f575c64, v60
	v_mul_f32_e32 v120, 0xbf4178ce, v58
	v_add_f32_e32 v77, v77, v78
	v_mov_b32_e32 v78, v120
	v_fmac_f32_e32 v78, 0xbf27a4f4, v59
	v_mul_f32_e32 v121, 0x3f68dda4, v71
	v_add_f32_e32 v77, v78, v77
	v_mov_b32_e32 v78, v121
	v_fmac_f32_e32 v78, 0x3ed4b147, v73
	v_mul_f32_e32 v122, 0xbf7d64f0, v76
	v_add_f32_e32 v77, v78, v77
	v_mov_b32_e32 v78, v122
	v_fmac_f32_e32 v78, 0xbe11bafb, v89
	v_mul_f32_e32 v69, 0xbe903f40, v69
	v_add_f32_e32 v78, v78, v77
	v_fma_f32 v77, v53, s14, -v69
	v_mul_f32_e32 v68, 0x3f0a6770, v68
	v_fma_f32 v62, v62, s14, -v118
	v_add_f32_e32 v77, v0, v77
	v_fma_f32 v123, v52, s7, -v68
	v_mul_f32_e32 v72, 0xbf4178ce, v72
	v_fma_f32 v60, v60, s7, -v119
	v_add_f32_e32 v62, v1, v62
	v_add_f32_e32 v77, v123, v77
	v_fma_f32 v123, v51, s9, -v72
	v_mul_f32_e32 v79, 0x3f68dda4, v79
	v_add_f32_e32 v60, v60, v62
	v_fma_f32 v59, v59, s9, -v120
	v_fmac_f32_e32 v69, 0xbf75a155, v53
	v_mul_f32_e32 v110, 0x3ed4b147, v52
	v_mul_f32_e32 v112, 0xbf27a4f4, v52
	;; [unrolled: 1-line block ×4, first 2 shown]
	v_add_f32_e32 v77, v123, v77
	v_fma_f32 v123, v55, s6, -v79
	v_mul_f32_e32 v91, 0xbf7d64f0, v91
	v_add_f32_e32 v59, v59, v60
	v_fma_f32 v73, v73, s6, -v121
	v_fmac_f32_e32 v68, 0x3f575c64, v52
	v_add_f32_e32 v52, v0, v69
	v_add_f32_e32 v77, v123, v77
	v_fma_f32 v123, v75, s8, -v91
	v_add_f32_e32 v59, v73, v59
	v_fma_f32 v89, v89, s8, -v122
	v_add_f32_e32 v52, v68, v52
	v_fmac_f32_e32 v72, 0xbf27a4f4, v51
	v_add_f32_e32 v77, v123, v77
	v_mul_f32_e32 v123, 0xbe11bafb, v51
	v_mul_f32_e32 v118, 0xbf75a155, v51
	;; [unrolled: 1-line block ×4, first 2 shown]
	v_add_f32_e32 v51, v72, v52
	v_add_f32_e32 v52, v89, v59
	v_sub_f32_e32 v59, v97, v109
	v_mul_f32_e32 v124, 0xbf7d64f0, v58
	v_mul_f32_e32 v119, 0x3e903f40, v58
	;; [unrolled: 1-line block ×4, first 2 shown]
	v_add_f32_e32 v59, v1, v59
	v_sub_f32_e32 v96, v96, v117
	v_mul_f32_e32 v102, 0x3f575c64, v53
	v_mul_f32_e32 v104, 0x3ed4b147, v53
	;; [unrolled: 1-line block ×8, first 2 shown]
	v_add_f32_e32 v59, v96, v59
	v_sub_f32_e32 v58, v99, v58
	v_mul_f32_e32 v121, 0xbf27a4f4, v55
	v_mul_f32_e32 v122, 0xbe11bafb, v55
	;; [unrolled: 1-line block ×4, first 2 shown]
	v_fmac_f32_e32 v79, 0x3ed4b147, v55
	v_mul_f32_e32 v55, 0xbe903f40, v76
	v_mul_f32_e32 v89, 0x3f0a6770, v76
	;; [unrolled: 1-line block ×4, first 2 shown]
	v_add_f32_e32 v58, v58, v59
	v_sub_f32_e32 v59, v100, v71
	v_add_f32_e32 v58, v59, v58
	v_sub_f32_e32 v59, v101, v76
	v_add_f32_e32 v59, v59, v58
	v_add_f32_e32 v58, v108, v92
	;; [unrolled: 1-line block ×5, first 2 shown]
	v_fmac_f32_e32 v91, 0xbe11bafb, v75
	v_add_f32_e32 v58, v71, v58
	v_add_f32_e32 v60, v60, v94
	v_mul_f32_e32 v72, 0xbf75a155, v75
	v_mul_f32_e32 v79, 0x3f575c64, v75
	v_add_f32_e32 v51, v91, v51
	v_mul_f32_e32 v91, 0xbf27a4f4, v75
	v_mul_f32_e32 v75, 0x3ed4b147, v75
	v_add_f32_e32 v58, v60, v58
	v_add_f32_e32 v60, v69, v95
	;; [unrolled: 1-line block ×5, first 2 shown]
	v_sub_f32_e32 v60, v84, v107
	v_add_f32_e32 v60, v1, v60
	v_sub_f32_e32 v69, v85, v115
	v_add_f32_e32 v60, v69, v60
	;; [unrolled: 2-line block ×5, first 2 shown]
	v_add_f32_e32 v60, v106, v80
	v_add_f32_e32 v60, v0, v60
	;; [unrolled: 1-line block ×10, first 2 shown]
	v_sub_f32_e32 v60, v64, v105
	v_add_f32_e32 v60, v1, v60
	v_sub_f32_e32 v62, v65, v113
	v_add_f32_e32 v60, v62, v60
	;; [unrolled: 2-line block ×3, first 2 shown]
	v_sub_f32_e32 v53, v70, v53
	v_sub_f32_e32 v48, v48, v103
	v_add_f32_e32 v53, v53, v60
	v_sub_f32_e32 v60, v74, v89
	v_add_f32_e32 v48, v1, v48
	v_add_f32_e32 v1, v1, v44
	;; [unrolled: 1-line block ×18, first 2 shown]
	v_sub_f32_e32 v46, v46, v111
	v_add_f32_e32 v19, v110, v19
	v_add_f32_e32 v1, v1, v18
	;; [unrolled: 1-line block ×5, first 2 shown]
	v_sub_f32_e32 v47, v47, v124
	v_add_f32_e32 v19, v19, v30
	v_add_f32_e32 v30, v123, v31
	;; [unrolled: 1-line block ×7, first 2 shown]
	v_sub_f32_e32 v47, v49, v73
	v_add_f32_e32 v19, v30, v19
	v_add_f32_e32 v30, v121, v45
	v_add_f32_e32 v1, v1, v11
	v_add_f32_e32 v0, v0, v41
	v_mov_b32_e32 v11, 3
	v_add_f32_e32 v53, v56, v53
	v_add_f32_e32 v56, v122, v63
	;; [unrolled: 1-line block ×3, first 2 shown]
	v_sub_f32_e32 v47, v54, v55
	v_add_f32_e32 v19, v30, v19
	v_add_f32_e32 v30, v72, v50
	;; [unrolled: 1-line block ×3, first 2 shown]
	v_mul_u32_u24_e32 v10, 0x108, v25
	v_lshlrev_b32_sdwa v11, v11, v32 dst_sel:DWORD dst_unused:UNUSED_PAD src0_sel:DWORD src1_sel:BYTE_0
	v_add_f32_e32 v53, v56, v53
	v_add_f32_e32 v56, v79, v66
	;; [unrolled: 1-line block ×5, first 2 shown]
	v_add3_u32 v10, 0, v10, v11
	v_add_f32_e32 v61, v56, v53
	ds_write2_b64 v10, v[0:1], v[45:46] offset1:3
	ds_write2_b64 v10, v[61:62], v[68:69] offset0:6 offset1:9
	ds_write2_b64 v10, v[58:59], v[51:52] offset0:12 offset1:15
	;; [unrolled: 1-line block ×4, first 2 shown]
	ds_write_b64 v10, v[2:3] offset:240
.LBB0_25:
	s_or_b64 exec, exec, s[4:5]
	s_waitcnt lgkmcnt(0)
	s_barrier
	ds_read_b64 v[14:15], v38
	ds_read_b64 v[36:37], v38 offset:2112
	ds_read_b64 v[34:35], v38 offset:4224
	;; [unrolled: 1-line block ×6, first 2 shown]
	v_cmp_gt_u32_e32 vcc, 33, v24
                                        ; implicit-def: $vgpr1
                                        ; implicit-def: $vgpr13
                                        ; implicit-def: $vgpr11
	s_and_saveexec_b64 s[4:5], vcc
	s_cbranch_execz .LBB0_27
; %bb.26:
	v_add_u32_e32 v0, 0x1400, v38
	ds_read2_b32 v[6:7], v0 offset0:238 offset1:239
	ds_read_b64 v[4:5], v38 offset:1848
	ds_read_b64 v[8:9], v38 offset:3960
	;; [unrolled: 1-line block ×6, first 2 shown]
.LBB0_27:
	s_or_b64 exec, exec, s[4:5]
	s_movk_i32 s4, 0xf9
	v_mul_lo_u16_sdwa v25, v24, s4 dst_sel:DWORD dst_unused:UNUSED_PAD src0_sel:BYTE_0 src1_sel:DWORD
	v_lshrrev_b16_e32 v25, 13, v25
	v_mul_lo_u16_e32 v39, 33, v25
	v_sub_u16_e32 v51, v24, v39
	v_mov_b32_e32 v39, 6
	v_mul_u32_u24_sdwa v39, v51, v39 dst_sel:DWORD dst_unused:UNUSED_PAD src0_sel:BYTE_0 src1_sel:DWORD
	v_lshlrev_b32_e32 v52, 3, v39
	global_load_dwordx4 v[39:42], v52, s[12:13] offset:240
	global_load_dwordx4 v[43:46], v52, s[12:13] offset:256
	;; [unrolled: 1-line block ×3, first 2 shown]
	s_mov_b32 s6, 0xbf5ff5aa
	s_mov_b32 s7, 0x3f3bfb3b
	;; [unrolled: 1-line block ×4, first 2 shown]
	v_mul_u32_u24_e32 v25, 0x738, v25
	s_waitcnt vmcnt(0) lgkmcnt(0)
	s_barrier
	v_mul_f32_e32 v52, v40, v37
	v_mul_f32_e32 v40, v40, v36
	;; [unrolled: 1-line block ×12, first 2 shown]
	v_fmac_f32_e32 v52, v39, v36
	v_fma_f32 v36, v39, v37, -v40
	v_fmac_f32_e32 v53, v41, v34
	v_fma_f32 v34, v41, v35, -v42
	;; [unrolled: 2-line block ×6, first 2 shown]
	v_add_f32_e32 v17, v52, v57
	v_add_f32_e32 v19, v36, v16
	;; [unrolled: 1-line block ×4, first 2 shown]
	v_sub_f32_e32 v16, v36, v16
	v_sub_f32_e32 v36, v53, v56
	;; [unrolled: 1-line block ×3, first 2 shown]
	v_add_f32_e32 v34, v54, v55
	v_add_f32_e32 v37, v32, v30
	v_sub_f32_e32 v39, v55, v54
	v_sub_f32_e32 v30, v30, v32
	v_add_f32_e32 v32, v33, v17
	v_add_f32_e32 v40, v35, v19
	v_sub_f32_e32 v31, v52, v57
	v_sub_f32_e32 v41, v33, v17
	;; [unrolled: 1-line block ×7, first 2 shown]
	v_add_f32_e32 v43, v39, v36
	v_add_f32_e32 v44, v30, v18
	v_sub_f32_e32 v45, v39, v36
	v_sub_f32_e32 v46, v30, v18
	v_add_f32_e32 v32, v34, v32
	v_add_f32_e32 v34, v37, v40
	v_sub_f32_e32 v39, v31, v39
	v_sub_f32_e32 v30, v16, v30
	;; [unrolled: 1-line block ×4, first 2 shown]
	v_add_f32_e32 v31, v43, v31
	v_add_f32_e32 v16, v44, v16
	v_mul_f32_e32 v17, 0x3f4a47b2, v17
	v_mul_f32_e32 v19, 0x3f4a47b2, v19
	;; [unrolled: 1-line block ×6, first 2 shown]
	v_add_f32_e32 v14, v32, v14
	v_add_f32_e32 v15, v34, v15
	v_mul_f32_e32 v45, 0xbf5ff5aa, v36
	v_mul_f32_e32 v46, 0xbf5ff5aa, v18
	v_fma_f32 v37, v41, s7, -v37
	v_fma_f32 v40, v42, s7, -v40
	;; [unrolled: 1-line block ×3, first 2 shown]
	v_fmac_f32_e32 v17, 0x3d64c772, v33
	v_fma_f32 v33, v42, s8, -v19
	v_fmac_f32_e32 v19, 0x3d64c772, v35
	v_fma_f32 v35, v36, s6, -v43
	v_fma_f32 v36, v18, s6, -v44
	v_mov_b32_e32 v18, v14
	v_mov_b32_e32 v42, v15
	v_fmac_f32_e32 v43, 0xbeae86e6, v39
	v_fmac_f32_e32 v18, 0xbf955555, v32
	v_fmac_f32_e32 v42, 0xbf955555, v34
	v_fma_f32 v39, v39, s9, -v45
	v_add_f32_e32 v32, v37, v18
	v_add_f32_e32 v37, v40, v42
	;; [unrolled: 1-line block ×4, first 2 shown]
	v_fmac_f32_e32 v35, 0xbee1c552, v31
	v_fmac_f32_e32 v39, 0xbee1c552, v31
	;; [unrolled: 1-line block ×3, first 2 shown]
	v_fma_f32 v34, v30, s9, -v46
	v_add_f32_e32 v46, v19, v42
	v_fmac_f32_e32 v43, 0xbee1c552, v31
	v_sub_f32_e32 v19, v41, v39
	v_add_f32_e32 v31, v35, v37
	v_sub_f32_e32 v33, v37, v35
	v_add_f32_e32 v35, v39, v41
	v_mov_b32_e32 v39, 3
	v_add_f32_e32 v45, v17, v18
	v_fmac_f32_e32 v44, 0xbee1c552, v16
	v_lshlrev_b32_sdwa v39, v39, v51 dst_sel:DWORD dst_unused:UNUSED_PAD src0_sel:DWORD src1_sel:BYTE_0
	v_fmac_f32_e32 v36, 0xbee1c552, v16
	v_fmac_f32_e32 v34, 0xbee1c552, v16
	v_add_f32_e32 v16, v44, v45
	v_sub_f32_e32 v17, v46, v43
	v_add3_u32 v25, 0, v25, v39
	v_add_f32_e32 v18, v34, v40
	v_sub_f32_e32 v30, v32, v36
	v_add_f32_e32 v32, v36, v32
	v_sub_f32_e32 v34, v40, v34
	v_sub_f32_e32 v36, v45, v44
	v_add_f32_e32 v37, v43, v46
	ds_write2_b64 v25, v[14:15], v[16:17] offset1:33
	ds_write2_b64 v25, v[18:19], v[30:31] offset0:66 offset1:99
	ds_write2_b64 v25, v[32:33], v[34:35] offset0:132 offset1:165
	ds_write_b64 v25, v[36:37] offset:1584
	s_and_saveexec_b64 s[4:5], vcc
	s_cbranch_execz .LBB0_29
; %bb.28:
	v_add_u32_e32 v14, 0xe7, v24
	s_mov_b32 s14, 0xf83f
	v_mul_u32_u24_sdwa v15, v14, s14 dst_sel:DWORD dst_unused:UNUSED_PAD src0_sel:WORD_0 src1_sel:DWORD
	v_lshrrev_b32_e32 v15, 21, v15
	v_mul_lo_u16_e32 v15, 33, v15
	v_sub_u16_e32 v18, v14, v15
	v_mul_u32_u24_e32 v14, 6, v18
	v_lshlrev_b32_e32 v19, 3, v14
	global_load_dwordx4 v[14:17], v19, s[12:13] offset:240
	global_load_dwordx4 v[30:33], v19, s[12:13] offset:272
	;; [unrolled: 1-line block ×3, first 2 shown]
	s_waitcnt vmcnt(2)
	v_mul_f32_e32 v19, v9, v15
	s_waitcnt vmcnt(1)
	v_mul_f32_e32 v25, v13, v33
	;; [unrolled: 2-line block ×3, first 2 shown]
	v_mul_f32_e32 v40, v3, v35
	v_mul_f32_e32 v41, v7, v17
	;; [unrolled: 1-line block ×9, first 2 shown]
	v_fmac_f32_e32 v19, v8, v14
	v_fmac_f32_e32 v25, v12, v32
	;; [unrolled: 1-line block ×6, first 2 shown]
	v_fma_f32 v0, v13, v32, -v33
	v_fma_f32 v2, v9, v14, -v15
	v_fma_f32 v6, v11, v30, -v31
	v_fma_f32 v7, v7, v16, -v17
	v_fma_f32 v3, v3, v34, -v35
	v_fma_f32 v1, v1, v36, -v37
	v_add_f32_e32 v11, v2, v0
	v_add_f32_e32 v13, v7, v6
	;; [unrolled: 1-line block ×5, first 2 shown]
	v_sub_f32_e32 v8, v19, v25
	v_sub_f32_e32 v9, v39, v40
	;; [unrolled: 1-line block ×3, first 2 shown]
	v_add_f32_e32 v12, v3, v1
	v_sub_f32_e32 v17, v2, v0
	v_sub_f32_e32 v0, v1, v3
	;; [unrolled: 1-line block ×3, first 2 shown]
	v_add_f32_e32 v19, v13, v11
	v_sub_f32_e32 v25, v14, v15
	v_add_f32_e32 v31, v16, v14
	v_sub_f32_e32 v2, v8, v9
	v_sub_f32_e32 v1, v9, v10
	v_add_f32_e32 v3, v9, v10
	v_sub_f32_e32 v7, v11, v12
	v_sub_f32_e32 v9, v12, v13
	;; [unrolled: 1-line block ×5, first 2 shown]
	v_add_f32_e32 v0, v0, v6
	v_add_f32_e32 v12, v12, v19
	v_mul_f32_e32 v19, 0x3f4a47b2, v25
	v_add_f32_e32 v15, v15, v31
	v_sub_f32_e32 v10, v10, v8
	v_sub_f32_e32 v11, v13, v11
	v_mul_f32_e32 v13, 0x3f08b237, v1
	v_add_f32_e32 v8, v3, v8
	v_mul_f32_e32 v3, 0x3f4a47b2, v7
	v_mul_f32_e32 v31, 0x3f08b237, v33
	v_add_f32_e32 v33, v0, v17
	v_add_f32_e32 v1, v5, v12
	v_mov_b32_e32 v5, v19
	v_add_f32_e32 v0, v4, v15
	v_mul_f32_e32 v25, 0x3d64c772, v30
	v_mov_b32_e32 v36, v3
	v_fmac_f32_e32 v5, 0x3d64c772, v30
	v_mov_b32_e32 v30, v0
	v_sub_f32_e32 v14, v16, v14
	v_mul_f32_e32 v7, 0x3d64c772, v9
	v_mul_f32_e32 v34, 0xbf5ff5aa, v10
	v_mov_b32_e32 v35, v13
	v_mov_b32_e32 v37, v31
	v_fmac_f32_e32 v36, 0x3d64c772, v9
	v_mov_b32_e32 v9, v1
	v_fmac_f32_e32 v30, 0xbf955555, v15
	v_fma_f32 v4, v14, s8, -v19
	v_sub_f32_e32 v6, v6, v17
	v_fma_f32 v34, v2, s9, -v34
	v_fmac_f32_e32 v35, 0xbeae86e6, v2
	v_fmac_f32_e32 v37, 0xbeae86e6, v32
	;; [unrolled: 1-line block ×3, first 2 shown]
	v_add_f32_e32 v16, v4, v30
	v_mul_f32_e32 v4, 0xbf5ff5aa, v6
	v_fma_f32 v10, v10, s6, -v13
	v_fma_f32 v3, v11, s8, -v3
	v_fmac_f32_e32 v34, 0xbee1c552, v8
	v_fmac_f32_e32 v35, 0xbee1c552, v8
	v_fmac_f32_e32 v37, 0xbee1c552, v33
	v_add_f32_e32 v12, v36, v9
	v_add_f32_e32 v15, v5, v30
	v_fma_f32 v17, v32, s9, -v4
	v_fma_f32 v7, v11, s7, -v7
	v_fmac_f32_e32 v10, 0xbee1c552, v8
	v_fma_f32 v8, v6, s6, -v31
	v_fma_f32 v6, v14, s7, -v25
	v_lshl_add_u32 v14, v18, 3, 0
	v_add_f32_e32 v36, v3, v9
	v_add_f32_e32 v3, v35, v12
	v_sub_f32_e32 v2, v15, v37
	v_fmac_f32_e32 v17, 0xbee1c552, v33
	v_add_f32_e32 v9, v7, v9
	v_fmac_f32_e32 v8, 0xbee1c552, v33
	v_add_f32_e32 v11, v6, v30
	v_sub_f32_e32 v13, v12, v35
	v_add_f32_e32 v12, v37, v15
	v_add_u32_e32 v15, 0x3000, v14
	v_add_f32_e32 v5, v34, v36
	v_sub_f32_e32 v4, v16, v17
	v_sub_f32_e32 v7, v9, v10
	v_add_f32_e32 v6, v8, v11
	v_add_f32_e32 v9, v10, v9
	v_sub_f32_e32 v8, v11, v8
	v_sub_f32_e32 v11, v36, v34
	v_add_f32_e32 v10, v17, v16
	ds_write2_b64 v15, v[0:1], v[12:13] offset0:81 offset1:114
	ds_write2_b64 v15, v[10:11], v[8:9] offset0:147 offset1:180
	;; [unrolled: 1-line block ×3, first 2 shown]
	ds_write_b64 v14, v[2:3] offset:14520
.LBB0_29:
	s_or_b64 exec, exec, s[4:5]
	v_mul_u32_u24_e32 v0, 3, v24
	v_lshlrev_b32_e32 v4, 3, v0
	s_waitcnt lgkmcnt(0)
	s_barrier
	global_load_dwordx4 v[0:3], v4, s[12:13] offset:1824
	global_load_dwordx2 v[16:17], v4, s[12:13] offset:1840
	v_add_u32_e32 v32, 0xe00, v38
	ds_read2_b64 v[4:7], v38 offset1:231
	v_add_u32_e32 v33, 0x1c80, v38
	ds_read_b64 v[18:19], v38 offset:11088
	v_add_u32_e32 v25, 0x3000, v38
	ds_read2_b64 v[8:11], v32 offset0:14 offset1:245
	ds_read2_b64 v[12:15], v33 offset0:12 offset1:243
	ds_read2_b32 v[30:31], v25 offset0:162 offset1:163
	v_mov_b32_e32 v35, s13
	v_add_co_u32_e32 v25, vcc, s12, v26
	v_addc_co_u32_e32 v26, vcc, v35, v27, vcc
	s_movk_i32 s5, 0x1000
	v_add_u32_e32 v34, 0x2b00, v38
	s_waitcnt vmcnt(0) lgkmcnt(0)
	s_barrier
	s_movk_i32 s4, 0x3000
	v_mul_f32_e32 v27, v1, v9
	v_mul_f32_e32 v36, v1, v8
	;; [unrolled: 1-line block ×12, first 2 shown]
	v_fmac_f32_e32 v27, v0, v8
	v_fma_f32 v8, v0, v9, -v36
	v_fmac_f32_e32 v37, v2, v12
	v_fma_f32 v9, v2, v13, -v39
	;; [unrolled: 2-line block ×6, first 2 shown]
	v_sub_f32_e32 v11, v4, v37
	v_sub_f32_e32 v9, v5, v9
	;; [unrolled: 1-line block ×8, first 2 shown]
	v_fma_f32 v16, v4, 2.0, -v11
	v_fma_f32 v17, v5, 2.0, -v9
	v_fma_f32 v4, v27, 2.0, -v2
	v_fma_f32 v5, v8, 2.0, -v3
	v_sub_f32_e32 v1, v9, v2
	v_fma_f32 v18, v6, 2.0, -v12
	v_fma_f32 v19, v7, 2.0, -v13
	;; [unrolled: 1-line block ×4, first 2 shown]
	v_add_f32_e32 v0, v11, v3
	v_add_f32_e32 v2, v12, v15
	v_sub_f32_e32 v3, v13, v14
	v_sub_f32_e32 v4, v16, v4
	;; [unrolled: 1-line block ×3, first 2 shown]
	v_fma_f32 v7, v9, 2.0, -v1
	v_sub_f32_e32 v8, v18, v8
	v_sub_f32_e32 v9, v19, v10
	v_fma_f32 v6, v11, 2.0, -v0
	v_fma_f32 v10, v12, 2.0, -v2
	;; [unrolled: 1-line block ×7, first 2 shown]
	ds_write2_b64 v32, v[4:5], v[0:1] offset0:14 offset1:245
	ds_write2_b64 v34, v[8:9], v[2:3] offset0:10 offset1:241
	ds_write2_b64 v38, v[12:13], v[6:7] offset1:231
	ds_write2_b64 v33, v[14:15], v[10:11] offset0:12 offset1:243
	v_add_co_u32_e32 v0, vcc, s5, v25
	v_addc_co_u32_e32 v1, vcc, 0, v26, vcc
	v_add_co_u32_e32 v4, vcc, s12, v28
	v_addc_co_u32_e32 v5, vcc, v35, v29, vcc
	s_movk_i32 s5, 0x2000
	v_add_co_u32_e32 v2, vcc, s5, v4
	v_addc_co_u32_e32 v3, vcc, 0, v5, vcc
	s_waitcnt lgkmcnt(0)
	s_barrier
	global_load_dwordx2 v[16:17], v[0:1], off offset:3272
	global_load_dwordx2 v[18:19], v[2:3], off offset:1024
	;; [unrolled: 1-line block ×3, first 2 shown]
	v_add_co_u32_e32 v0, vcc, s4, v4
	v_addc_co_u32_e32 v1, vcc, 0, v5, vcc
	global_load_dwordx2 v[27:28], v[0:1], off offset:624
	ds_read2_b64 v[0:3], v38 offset1:231
	ds_read2_b64 v[4:7], v33 offset0:12 offset1:243
	ds_read2_b64 v[8:11], v32 offset0:14 offset1:245
	;; [unrolled: 1-line block ×3, first 2 shown]
	s_waitcnt vmcnt(0) lgkmcnt(0)
	s_barrier
	v_mul_f32_e32 v29, v17, v5
	v_mul_f32_e32 v17, v17, v4
	;; [unrolled: 1-line block ×6, first 2 shown]
	v_fmac_f32_e32 v29, v16, v4
	v_mul_f32_e32 v35, v28, v15
	v_mul_f32_e32 v28, v28, v14
	v_fma_f32 v5, v16, v5, -v17
	v_fmac_f32_e32 v30, v18, v6
	v_fma_f32 v7, v18, v7, -v19
	v_fmac_f32_e32 v31, v25, v12
	;; [unrolled: 2-line block ×3, first 2 shown]
	v_fma_f32 v15, v27, v15, -v28
	v_sub_f32_e32 v4, v0, v29
	v_sub_f32_e32 v5, v1, v5
	;; [unrolled: 1-line block ×8, first 2 shown]
	v_fma_f32 v0, v0, 2.0, -v4
	v_fma_f32 v1, v1, 2.0, -v5
	;; [unrolled: 1-line block ×8, first 2 shown]
	ds_write2_b64 v33, v[4:5], v[6:7] offset0:12 offset1:243
	ds_write2_b64 v34, v[12:13], v[14:15] offset0:10 offset1:241
	ds_write2_b64 v38, v[0:1], v[2:3] offset1:231
	ds_write2_b64 v32, v[8:9], v[10:11] offset0:14 offset1:245
	s_waitcnt lgkmcnt(0)
	s_barrier
	s_and_saveexec_b64 s[4:5], s[0:1]
	s_cbranch_execz .LBB0_31
; %bb.30:
	v_mul_lo_u32 v0, s3, v22
	v_mul_lo_u32 v1, s2, v23
	v_mad_u64_u32 v[4:5], s[0:1], s2, v22, 0
	v_mov_b32_e32 v7, s11
	v_lshl_add_u32 v6, v24, 3, 0
	v_add3_u32 v5, v5, v1, v0
	v_lshlrev_b64 v[4:5], 3, v[4:5]
	v_mov_b32_e32 v25, 0
	v_add_co_u32_e32 v8, vcc, s10, v4
	v_addc_co_u32_e32 v7, vcc, v7, v5, vcc
	v_lshlrev_b64 v[4:5], 3, v[20:21]
	ds_read2_b64 v[0:3], v6 offset1:231
	v_add_co_u32_e32 v8, vcc, v8, v4
	v_addc_co_u32_e32 v7, vcc, v7, v5, vcc
	v_lshlrev_b64 v[4:5], 3, v[24:25]
	v_add_co_u32_e32 v4, vcc, v8, v4
	v_addc_co_u32_e32 v5, vcc, v7, v5, vcc
	s_waitcnt lgkmcnt(0)
	global_store_dwordx2 v[4:5], v[0:1], off
	v_add_u32_e32 v0, 0xe7, v24
	v_mov_b32_e32 v1, v25
	v_lshlrev_b64 v[0:1], 3, v[0:1]
	v_add_u32_e32 v4, 0x1ce, v24
	v_add_co_u32_e32 v0, vcc, v8, v0
	v_addc_co_u32_e32 v1, vcc, v7, v1, vcc
	global_store_dwordx2 v[0:1], v[2:3], off
	v_add_u32_e32 v0, 0xe00, v6
	v_mov_b32_e32 v5, v25
	ds_read2_b64 v[0:3], v0 offset0:14 offset1:245
	v_lshlrev_b64 v[4:5], 3, v[4:5]
	v_add_co_u32_e32 v4, vcc, v8, v4
	v_addc_co_u32_e32 v5, vcc, v7, v5, vcc
	s_waitcnt lgkmcnt(0)
	global_store_dwordx2 v[4:5], v[0:1], off
	v_add_u32_e32 v0, 0x2b5, v24
	v_mov_b32_e32 v1, v25
	v_lshlrev_b64 v[0:1], 3, v[0:1]
	v_add_u32_e32 v4, 0x39c, v24
	v_add_co_u32_e32 v0, vcc, v8, v0
	v_addc_co_u32_e32 v1, vcc, v7, v1, vcc
	global_store_dwordx2 v[0:1], v[2:3], off
	v_add_u32_e32 v0, 0x1c80, v6
	v_mov_b32_e32 v5, v25
	ds_read2_b64 v[0:3], v0 offset0:12 offset1:243
	;; [unrolled: 15-line block ×3, first 2 shown]
	v_lshlrev_b64 v[4:5], 3, v[4:5]
	v_add_u32_e32 v24, 0x651, v24
	v_add_co_u32_e32 v4, vcc, v8, v4
	v_addc_co_u32_e32 v5, vcc, v7, v5, vcc
	s_waitcnt lgkmcnt(0)
	global_store_dwordx2 v[4:5], v[0:1], off
	v_lshlrev_b64 v[0:1], 3, v[24:25]
	v_add_co_u32_e32 v0, vcc, v8, v0
	v_addc_co_u32_e32 v1, vcc, v7, v1, vcc
	global_store_dwordx2 v[0:1], v[2:3], off
.LBB0_31:
	s_endpgm
	.section	.rodata,"a",@progbits
	.p2align	6, 0x0
	.amdhsa_kernel fft_rtc_back_len1848_factors_3_11_7_4_2_wgs_231_tpt_231_halfLds_sp_op_CI_CI_unitstride_sbrr_C2R_dirReg
		.amdhsa_group_segment_fixed_size 0
		.amdhsa_private_segment_fixed_size 0
		.amdhsa_kernarg_size 104
		.amdhsa_user_sgpr_count 6
		.amdhsa_user_sgpr_private_segment_buffer 1
		.amdhsa_user_sgpr_dispatch_ptr 0
		.amdhsa_user_sgpr_queue_ptr 0
		.amdhsa_user_sgpr_kernarg_segment_ptr 1
		.amdhsa_user_sgpr_dispatch_id 0
		.amdhsa_user_sgpr_flat_scratch_init 0
		.amdhsa_user_sgpr_private_segment_size 0
		.amdhsa_uses_dynamic_stack 0
		.amdhsa_system_sgpr_private_segment_wavefront_offset 0
		.amdhsa_system_sgpr_workgroup_id_x 1
		.amdhsa_system_sgpr_workgroup_id_y 0
		.amdhsa_system_sgpr_workgroup_id_z 0
		.amdhsa_system_sgpr_workgroup_info 0
		.amdhsa_system_vgpr_workitem_id 0
		.amdhsa_next_free_vgpr 126
		.amdhsa_next_free_sgpr 28
		.amdhsa_reserve_vcc 1
		.amdhsa_reserve_flat_scratch 0
		.amdhsa_float_round_mode_32 0
		.amdhsa_float_round_mode_16_64 0
		.amdhsa_float_denorm_mode_32 3
		.amdhsa_float_denorm_mode_16_64 3
		.amdhsa_dx10_clamp 1
		.amdhsa_ieee_mode 1
		.amdhsa_fp16_overflow 0
		.amdhsa_exception_fp_ieee_invalid_op 0
		.amdhsa_exception_fp_denorm_src 0
		.amdhsa_exception_fp_ieee_div_zero 0
		.amdhsa_exception_fp_ieee_overflow 0
		.amdhsa_exception_fp_ieee_underflow 0
		.amdhsa_exception_fp_ieee_inexact 0
		.amdhsa_exception_int_div_zero 0
	.end_amdhsa_kernel
	.text
.Lfunc_end0:
	.size	fft_rtc_back_len1848_factors_3_11_7_4_2_wgs_231_tpt_231_halfLds_sp_op_CI_CI_unitstride_sbrr_C2R_dirReg, .Lfunc_end0-fft_rtc_back_len1848_factors_3_11_7_4_2_wgs_231_tpt_231_halfLds_sp_op_CI_CI_unitstride_sbrr_C2R_dirReg
                                        ; -- End function
	.section	.AMDGPU.csdata,"",@progbits
; Kernel info:
; codeLenInByte = 8028
; NumSgprs: 32
; NumVgprs: 126
; ScratchSize: 0
; MemoryBound: 0
; FloatMode: 240
; IeeeMode: 1
; LDSByteSize: 0 bytes/workgroup (compile time only)
; SGPRBlocks: 3
; VGPRBlocks: 31
; NumSGPRsForWavesPerEU: 32
; NumVGPRsForWavesPerEU: 126
; Occupancy: 2
; WaveLimiterHint : 1
; COMPUTE_PGM_RSRC2:SCRATCH_EN: 0
; COMPUTE_PGM_RSRC2:USER_SGPR: 6
; COMPUTE_PGM_RSRC2:TRAP_HANDLER: 0
; COMPUTE_PGM_RSRC2:TGID_X_EN: 1
; COMPUTE_PGM_RSRC2:TGID_Y_EN: 0
; COMPUTE_PGM_RSRC2:TGID_Z_EN: 0
; COMPUTE_PGM_RSRC2:TIDIG_COMP_CNT: 0
	.type	__hip_cuid_67c05a3919f76b6d,@object ; @__hip_cuid_67c05a3919f76b6d
	.section	.bss,"aw",@nobits
	.globl	__hip_cuid_67c05a3919f76b6d
__hip_cuid_67c05a3919f76b6d:
	.byte	0                               ; 0x0
	.size	__hip_cuid_67c05a3919f76b6d, 1

	.ident	"AMD clang version 19.0.0git (https://github.com/RadeonOpenCompute/llvm-project roc-6.4.0 25133 c7fe45cf4b819c5991fe208aaa96edf142730f1d)"
	.section	".note.GNU-stack","",@progbits
	.addrsig
	.addrsig_sym __hip_cuid_67c05a3919f76b6d
	.amdgpu_metadata
---
amdhsa.kernels:
  - .args:
      - .actual_access:  read_only
        .address_space:  global
        .offset:         0
        .size:           8
        .value_kind:     global_buffer
      - .offset:         8
        .size:           8
        .value_kind:     by_value
      - .actual_access:  read_only
        .address_space:  global
        .offset:         16
        .size:           8
        .value_kind:     global_buffer
      - .actual_access:  read_only
        .address_space:  global
        .offset:         24
        .size:           8
        .value_kind:     global_buffer
      - .actual_access:  read_only
        .address_space:  global
        .offset:         32
        .size:           8
        .value_kind:     global_buffer
      - .offset:         40
        .size:           8
        .value_kind:     by_value
      - .actual_access:  read_only
        .address_space:  global
        .offset:         48
        .size:           8
        .value_kind:     global_buffer
      - .actual_access:  read_only
        .address_space:  global
        .offset:         56
        .size:           8
        .value_kind:     global_buffer
      - .offset:         64
        .size:           4
        .value_kind:     by_value
      - .actual_access:  read_only
        .address_space:  global
        .offset:         72
        .size:           8
        .value_kind:     global_buffer
      - .actual_access:  read_only
        .address_space:  global
        .offset:         80
        .size:           8
        .value_kind:     global_buffer
      - .actual_access:  read_only
        .address_space:  global
        .offset:         88
        .size:           8
        .value_kind:     global_buffer
      - .actual_access:  write_only
        .address_space:  global
        .offset:         96
        .size:           8
        .value_kind:     global_buffer
    .group_segment_fixed_size: 0
    .kernarg_segment_align: 8
    .kernarg_segment_size: 104
    .language:       OpenCL C
    .language_version:
      - 2
      - 0
    .max_flat_workgroup_size: 231
    .name:           fft_rtc_back_len1848_factors_3_11_7_4_2_wgs_231_tpt_231_halfLds_sp_op_CI_CI_unitstride_sbrr_C2R_dirReg
    .private_segment_fixed_size: 0
    .sgpr_count:     32
    .sgpr_spill_count: 0
    .symbol:         fft_rtc_back_len1848_factors_3_11_7_4_2_wgs_231_tpt_231_halfLds_sp_op_CI_CI_unitstride_sbrr_C2R_dirReg.kd
    .uniform_work_group_size: 1
    .uses_dynamic_stack: false
    .vgpr_count:     126
    .vgpr_spill_count: 0
    .wavefront_size: 64
amdhsa.target:   amdgcn-amd-amdhsa--gfx906
amdhsa.version:
  - 1
  - 2
...

	.end_amdgpu_metadata
